;; amdgpu-corpus repo=ROCm/rocFFT kind=compiled arch=gfx1201 opt=O3
	.text
	.amdgcn_target "amdgcn-amd-amdhsa--gfx1201"
	.amdhsa_code_object_version 6
	.protected	bluestein_single_back_len39_dim1_dp_op_CI_CI ; -- Begin function bluestein_single_back_len39_dim1_dp_op_CI_CI
	.globl	bluestein_single_back_len39_dim1_dp_op_CI_CI
	.p2align	8
	.type	bluestein_single_back_len39_dim1_dp_op_CI_CI,@function
bluestein_single_back_len39_dim1_dp_op_CI_CI: ; @bluestein_single_back_len39_dim1_dp_op_CI_CI
; %bb.0:
	s_load_b128 s[8:11], s[0:1], 0x28
	v_mul_u32_u24_e32 v1, 0x13b2, v0
	s_mov_b32 s2, exec_lo
	s_delay_alu instid0(VALU_DEP_1) | instskip(NEXT) | instid1(VALU_DEP_1)
	v_lshrrev_b32_e32 v1, 16, v1
	v_mad_co_u64_u32 v[92:93], null, ttmp9, 19, v[1:2]
	v_mov_b32_e32 v93, 0
	s_wait_kmcnt 0x0
	s_delay_alu instid0(VALU_DEP_1)
	v_cmpx_gt_u64_e64 s[8:9], v[92:93]
	s_cbranch_execz .LBB0_15
; %bb.1:
	v_mul_hi_u32 v2, 0xaf286bcb, v92
	v_mul_lo_u16 v1, v1, 13
	s_clause 0x1
	s_load_b64 s[12:13], s[0:1], 0x0
	s_load_b64 s[8:9], s[0:1], 0x38
	s_delay_alu instid0(VALU_DEP_1) | instskip(NEXT) | instid1(VALU_DEP_3)
	v_sub_nc_u16 v0, v0, v1
	v_sub_nc_u32_e32 v3, v92, v2
	s_delay_alu instid0(VALU_DEP_2) | instskip(SKIP_1) | instid1(VALU_DEP_3)
	v_and_b32_e32 v168, 0xffff, v0
	v_cmp_gt_u16_e32 vcc_lo, 3, v0
	v_lshrrev_b32_e32 v3, 1, v3
	s_delay_alu instid0(VALU_DEP_3) | instskip(SKIP_1) | instid1(VALU_DEP_3)
	v_lshlrev_b32_e32 v170, 4, v168
	v_or_b32_e32 v167, 12, v168
	v_add_nc_u32_e32 v2, v3, v2
	v_or_b32_e32 v166, 24, v168
	v_or_b32_e32 v165, 36, v168
	s_delay_alu instid0(VALU_DEP_3) | instskip(NEXT) | instid1(VALU_DEP_1)
	v_lshrrev_b32_e32 v2, 4, v2
	v_mul_lo_u32 v2, v2, 19
	s_delay_alu instid0(VALU_DEP_1) | instskip(NEXT) | instid1(VALU_DEP_1)
	v_sub_nc_u32_e32 v1, v92, v2
	v_mul_u32_u24_e32 v169, 39, v1
	s_delay_alu instid0(VALU_DEP_1)
	v_lshlrev_b32_e32 v171, 4, v169
	s_and_saveexec_b32 s3, vcc_lo
	s_cbranch_execz .LBB0_3
; %bb.2:
	s_load_b64 s[4:5], s[0:1], 0x18
	s_wait_kmcnt 0x0
	s_load_b128 s[4:7], s[4:5], 0x0
	s_clause 0x3
	global_load_b128 v[0:3], v170, s[12:13]
	global_load_b128 v[4:7], v170, s[12:13] offset:48
	global_load_b128 v[8:11], v170, s[12:13] offset:96
	;; [unrolled: 1-line block ×3, first 2 shown]
	s_wait_kmcnt 0x0
	v_mad_co_u64_u32 v[32:33], null, s6, v92, 0
	v_mad_co_u64_u32 v[34:35], null, s4, v168, 0
	v_mad_co_u64_u32 v[46:47], null, s4, v166, 0
	v_mad_co_u64_u32 v[44:45], null, s4, v167, 0
	s_delay_alu instid0(VALU_DEP_4) | instskip(SKIP_1) | instid1(VALU_DEP_4)
	v_mov_b32_e32 v16, v33
	v_mad_co_u64_u32 v[48:49], null, s4, v165, 0
	v_dual_mov_b32 v24, v35 :: v_dual_mov_b32 v37, v47
	s_delay_alu instid0(VALU_DEP_3)
	v_mad_co_u64_u32 v[25:26], null, s7, v92, v[16:17]
	s_mul_u64 s[6:7], s[4:5], 48
	s_clause 0x1
	global_load_b128 v[16:19], v170, s[12:13] offset:192
	global_load_b128 v[20:23], v170, s[12:13] offset:240
	v_mov_b32_e32 v33, v25
	v_mad_co_u64_u32 v[35:36], null, s5, v168, v[24:25]
	v_mov_b32_e32 v36, v45
	s_clause 0x1
	global_load_b128 v[24:27], v170, s[12:13] offset:384
	global_load_b128 v[28:31], v170, s[12:13] offset:432
	v_lshlrev_b64_e32 v[32:33], 4, v[32:33]
	v_mad_co_u64_u32 v[40:41], null, s5, v167, v[36:37]
	v_lshlrev_b64_e32 v[34:35], 4, v[34:35]
	s_delay_alu instid0(VALU_DEP_3) | instskip(NEXT) | instid1(VALU_DEP_1)
	v_add_co_u32 v56, s2, s10, v32
	v_add_co_ci_u32_e64 v57, s2, s11, v33, s2
	v_mad_co_u64_u32 v[41:42], null, s5, v166, v[37:38]
	v_mov_b32_e32 v45, v40
	s_delay_alu instid0(VALU_DEP_4) | instskip(SKIP_2) | instid1(VALU_DEP_4)
	v_add_co_u32 v50, s2, v56, v34
	s_wait_alu 0xf1ff
	v_add_co_ci_u32_e64 v51, s2, v57, v35, s2
	v_dual_mov_b32 v32, v49 :: v_dual_mov_b32 v47, v41
	s_wait_alu 0xfffe
	v_add_co_u32 v60, s2, v50, s6
	s_wait_alu 0xf1ff
	v_add_co_ci_u32_e64 v61, s2, s7, v51, s2
	v_lshlrev_b64_e32 v[44:45], 4, v[44:45]
	s_delay_alu instid0(VALU_DEP_3) | instskip(SKIP_1) | instid1(VALU_DEP_3)
	v_add_co_u32 v64, s2, v60, s6
	s_wait_alu 0xf1ff
	v_add_co_ci_u32_e64 v65, s2, s7, v61, s2
	v_mad_co_u64_u32 v[42:43], null, s5, v165, v[32:33]
	s_delay_alu instid0(VALU_DEP_3) | instskip(SKIP_1) | instid1(VALU_DEP_3)
	v_add_co_u32 v68, s2, v64, s6
	s_wait_alu 0xf1ff
	v_add_co_ci_u32_e64 v69, s2, s7, v65, s2
	s_mulk_i32 s5, 0x60
	v_lshlrev_b64_e32 v[46:47], 4, v[46:47]
	v_add_co_u32 v52, s2, v56, v44
	s_delay_alu instid0(VALU_DEP_3)
	v_mad_co_u64_u32 v[72:73], null, 0x60, s4, v[68:69]
	s_wait_alu 0xf1ff
	v_add_co_ci_u32_e64 v53, s2, v57, v45, s2
	v_mov_b32_e32 v49, v42
	s_clause 0x2
	global_load_b128 v[32:35], v170, s[12:13] offset:288
	global_load_b128 v[36:39], v170, s[12:13] offset:336
	;; [unrolled: 1-line block ×3, first 2 shown]
	s_wait_alu 0xfffe
	v_add_nc_u32_e32 v73, s5, v73
	v_add_co_u32 v76, s2, v72, s6
	v_lshlrev_b64_e32 v[48:49], 4, v[48:49]
	s_wait_alu 0xf1ff
	s_delay_alu instid0(VALU_DEP_3)
	v_add_co_ci_u32_e64 v77, s2, s7, v73, s2
	v_add_co_u32 v54, s2, v56, v46
	s_wait_alu 0xf1ff
	v_add_co_ci_u32_e64 v55, s2, v57, v47, s2
	v_add_co_u32 v80, s2, v76, s6
	s_wait_alu 0xf1ff
	;; [unrolled: 3-line block ×3, first 2 shown]
	v_add_co_ci_u32_e64 v57, s2, v57, v49, s2
	s_delay_alu instid0(VALU_DEP_3)
	v_mad_co_u64_u32 v[84:85], null, 0x60, s4, v[80:81]
	s_clause 0x7
	global_load_b128 v[44:47], v[50:51], off
	global_load_b128 v[48:51], v[52:53], off
	;; [unrolled: 1-line block ×10, first 2 shown]
	v_add_nc_u32_e32 v85, s5, v85
	v_add_co_u32 v88, s2, v84, s6
	s_wait_alu 0xf1ff
	s_delay_alu instid0(VALU_DEP_2) | instskip(NEXT) | instid1(VALU_DEP_2)
	v_add_co_ci_u32_e64 v89, s2, s7, v85, s2
	v_add_co_u32 v101, s2, v88, s6
	s_wait_alu 0xf1ff
	s_delay_alu instid0(VALU_DEP_2)
	v_add_co_ci_u32_e64 v102, s2, s7, v89, s2
	global_load_b128 v[84:87], v[84:85], off
	global_load_b128 v[88:91], v[88:89], off
	s_clause 0x1
	global_load_b128 v[93:96], v170, s[12:13] offset:480
	global_load_b128 v[97:100], v170, s[12:13] offset:528
	global_load_b128 v[101:104], v[101:102], off
	s_wait_loadcnt 0xe
	v_mul_f64_e32 v[105:106], v[46:47], v[2:3]
	v_mul_f64_e32 v[2:3], v[44:45], v[2:3]
	s_wait_loadcnt 0xd
	v_mul_f64_e32 v[107:108], v[50:51], v[18:19]
	v_mul_f64_e32 v[18:19], v[48:49], v[18:19]
	;; [unrolled: 3-line block ×9, first 2 shown]
	v_mul_f64_e32 v[111:112], v[58:59], v[42:43]
	v_mul_f64_e32 v[139:140], v[56:57], v[42:43]
	s_wait_loadcnt 0x4
	v_mul_f64_e32 v[131:132], v[86:87], v[30:31]
	v_mul_f64_e32 v[133:134], v[84:85], v[30:31]
	s_wait_loadcnt 0x2
	;; [unrolled: 3-line block ×3, first 2 shown]
	v_mul_f64_e32 v[137:138], v[103:104], v[99:100]
	v_mul_f64_e32 v[99:100], v[101:102], v[99:100]
	v_fma_f64 v[42:43], v[44:45], v[0:1], v[105:106]
	v_fma_f64 v[44:45], v[46:47], v[0:1], -v[2:3]
	v_fma_f64 v[0:1], v[48:49], v[16:17], v[107:108]
	v_fma_f64 v[2:3], v[50:51], v[16:17], -v[18:19]
	;; [unrolled: 2-line block ×10, first 2 shown]
	v_lshl_add_u32 v4, v168, 4, v171
	v_fma_f64 v[26:27], v[84:85], v[28:29], v[131:132]
	v_fma_f64 v[28:29], v[86:87], v[28:29], -v[133:134]
	v_fma_f64 v[50:51], v[88:89], v[93:94], v[135:136]
	v_fma_f64 v[52:53], v[90:91], v[93:94], -v[95:96]
	;; [unrolled: 2-line block ×3, first 2 shown]
	v_add_nc_u32_e32 v5, v171, v170
	ds_store_b128 v4, v[42:45]
	ds_store_b128 v5, v[22:25] offset:48
	ds_store_b128 v5, v[46:49] offset:96
	;; [unrolled: 1-line block ×12, first 2 shown]
.LBB0_3:
	s_or_b32 exec_lo, exec_lo, s3
	s_clause 0x1
	s_load_b64 s[2:3], s[0:1], 0x20
	s_load_b64 s[4:5], s[0:1], 0x8
	global_wb scope:SCOPE_SE
	s_wait_dscnt 0x0
	s_wait_kmcnt 0x0
	s_barrier_signal -1
	s_barrier_wait -1
	global_inv scope:SCOPE_SE
                                        ; implicit-def: $vgpr58_vgpr59
                                        ; implicit-def: $vgpr62_vgpr63
                                        ; implicit-def: $vgpr70_vgpr71
                                        ; implicit-def: $vgpr74_vgpr75
                                        ; implicit-def: $vgpr66_vgpr67
                                        ; implicit-def: $vgpr54_vgpr55
                                        ; implicit-def: $vgpr50_vgpr51
                                        ; implicit-def: $vgpr26_vgpr27
                                        ; implicit-def: $vgpr22_vgpr23
                                        ; implicit-def: $vgpr80_vgpr81
                                        ; implicit-def: $vgpr76_vgpr77
                                        ; implicit-def: $vgpr84_vgpr85
                                        ; implicit-def: $vgpr88_vgpr89
	s_and_saveexec_b32 s0, vcc_lo
	s_cbranch_execz .LBB0_5
; %bb.4:
	v_lshl_add_u32 v0, v169, 4, v170
	ds_load_b128 v[20:23], v0
	ds_load_b128 v[24:27], v0 offset:48
	ds_load_b128 v[48:51], v0 offset:96
	;; [unrolled: 1-line block ×12, first 2 shown]
.LBB0_5:
	s_wait_alu 0xfffe
	s_or_b32 exec_lo, exec_lo, s0
	s_wait_dscnt 0x0
	v_add_f64_e64 v[2:3], v[26:27], -v[90:91]
	s_mov_b32 s16, 0x4267c47c
	s_mov_b32 s17, 0xbfddbe06
	v_add_f64_e64 v[0:1], v[24:25], -v[88:89]
	v_add_f64_e32 v[93:94], v[24:25], v[88:89]
	v_add_f64_e64 v[4:5], v[50:51], -v[86:87]
	s_mov_b32 s0, 0xe00740e9
	s_mov_b32 s18, 0x42a4c3d2
	;; [unrolled: 1-line block ×6, first 2 shown]
	v_add_f64_e32 v[95:96], v[26:27], v[90:91]
	v_add_f64_e64 v[6:7], v[48:49], -v[84:85]
	v_add_f64_e32 v[97:98], v[48:49], v[84:85]
	v_add_f64_e64 v[8:9], v[54:55], -v[78:79]
	s_mov_b32 s14, 0x1ea71119
	s_mov_b32 s6, 0xebaa3ed8
	;; [unrolled: 1-line block ×10, first 2 shown]
	v_add_f64_e32 v[99:100], v[50:51], v[86:87]
	v_add_f64_e32 v[101:102], v[52:53], v[76:77]
	v_add_f64_e64 v[10:11], v[52:53], -v[76:77]
	v_add_f64_e64 v[14:15], v[66:67], -v[82:83]
	s_mov_b32 s10, 0xb2365da1
	s_mov_b32 s30, 0xd0032e0c
	;; [unrolled: 1-line block ×8, first 2 shown]
	v_mul_f64_e32 v[105:106], s[16:17], v[2:3]
	v_mul_f64_e32 v[121:122], s[18:19], v[2:3]
	;; [unrolled: 1-line block ×19, first 2 shown]
	s_mov_b32 s35, 0x3fddbe06
	s_mov_b32 s40, s28
	;; [unrolled: 1-line block ×4, first 2 shown]
	v_add_f64_e32 v[103:104], v[54:55], v[78:79]
	v_add_f64_e32 v[107:108], v[64:65], v[80:81]
	v_add_f64_e64 v[12:13], v[64:65], -v[80:81]
	v_mul_f64_e32 v[151:152], s[24:25], v[8:9]
	v_mul_f64_e32 v[200:201], s[40:41], v[4:5]
	;; [unrolled: 1-line block ×9, first 2 shown]
	s_mov_b32 s39, 0x3fedeba7
	s_mov_b32 s38, s22
	v_add_f64_e32 v[119:120], v[66:67], v[82:83]
	s_wait_alu 0xfffe
	v_fma_f64 v[36:37], v[93:94], s[0:1], v[105:106]
	v_fma_f64 v[40:41], v[93:94], s[14:15], v[121:122]
	v_fma_f64 v[176:177], v[93:94], s[6:7], -v[32:33]
	v_fma_f64 v[38:39], v[95:96], s[0:1], -v[109:110]
	;; [unrolled: 1-line block ×3, first 2 shown]
	v_fma_f64 v[182:183], v[95:96], s[6:7], v[34:35]
	v_fma_f64 v[32:33], v[93:94], s[6:7], v[32:33]
	;; [unrolled: 1-line block ×4, first 2 shown]
	v_fma_f64 v[34:35], v[95:96], s[6:7], -v[34:35]
	v_fma_f64 v[206:207], v[93:94], s[10:11], -v[44:45]
	v_fma_f64 v[210:211], v[95:96], s[10:11], v[46:47]
	v_fma_f64 v[44:45], v[93:94], s[10:11], v[44:45]
	v_fma_f64 v[192:193], v[99:100], s[14:15], -v[147:148]
	v_fma_f64 v[196:197], v[99:100], s[10:11], -v[155:156]
	;; [unrolled: 1-line block ×5, first 2 shown]
	v_fma_f64 v[224:225], v[95:96], s[30:31], v[178:179]
	v_fma_f64 v[226:227], v[99:100], s[26:27], v[180:181]
	;; [unrolled: 1-line block ×4, first 2 shown]
	v_fma_f64 v[178:179], v[95:96], s[30:31], -v[178:179]
	v_fma_f64 v[228:229], v[101:102], s[6:7], v[137:138]
	v_fma_f64 v[230:231], v[93:94], s[26:27], -v[2:3]
	v_fma_f64 v[232:233], v[95:96], s[26:27], v[0:1]
	v_fma_f64 v[2:3], v[93:94], s[26:27], v[2:3]
	v_fma_f64 v[0:1], v[95:96], s[26:27], -v[0:1]
	v_mul_f64_e32 v[141:142], s[20:21], v[10:11]
	v_mul_f64_e32 v[139:140], s[40:41], v[14:15]
	;; [unrolled: 1-line block ×7, first 2 shown]
	v_fma_f64 v[180:181], v[99:100], s[26:27], -v[180:181]
	v_fma_f64 v[236:237], v[97:98], s[30:31], -v[200:201]
	v_fma_f64 v[238:239], v[99:100], s[30:31], v[202:203]
	v_add_f64_e32 v[36:37], v[20:21], v[36:37]
	v_add_f64_e32 v[40:41], v[20:21], v[40:41]
	;; [unrolled: 1-line block ×7, first 2 shown]
	v_fma_f64 v[200:201], v[97:98], s[30:31], v[200:201]
	v_fma_f64 v[202:203], v[99:100], s[30:31], -v[202:203]
	v_add_f64_e32 v[34:35], v[22:23], v[34:35]
	v_add_f64_e32 v[206:207], v[20:21], v[206:207]
	v_add_f64_e32 v[210:211], v[22:23], v[210:211]
	v_add_f64_e32 v[44:45], v[20:21], v[44:45]
	v_fma_f64 v[240:241], v[97:98], s[6:7], -v[216:217]
	v_fma_f64 v[216:217], v[97:98], s[6:7], v[216:217]
	s_mov_b32 s43, 0x3fea55e2
	v_add_f64_e32 v[46:47], v[22:23], v[46:47]
	v_add_f64_e32 v[222:223], v[20:21], v[222:223]
	;; [unrolled: 1-line block ×3, first 2 shown]
	s_mov_b32 s45, 0x3fcea1e5
	s_mov_b32 s42, s18
	v_add_f64_e32 v[174:175], v[20:21], v[174:175]
	v_add_f64_e32 v[178:179], v[22:23], v[178:179]
	s_mov_b32 s44, s24
	v_add_f64_e32 v[230:231], v[20:21], v[230:231]
	v_add_f64_e32 v[232:233], v[22:23], v[232:233]
	;; [unrolled: 1-line block ×5, first 2 shown]
	v_add_f64_e64 v[30:31], v[72:73], -v[56:57]
	v_mul_f64_e32 v[135:136], s[22:23], v[12:13]
	v_mul_f64_e32 v[190:191], s[34:35], v[14:15]
	;; [unrolled: 1-line block ×5, first 2 shown]
	v_fma_f64 v[234:235], v[103:104], s[6:7], -v[141:142]
	v_add_f64_e64 v[115:116], v[74:75], -v[58:59]
	v_add_f64_e32 v[117:118], v[58:59], v[74:75]
	v_add_f64_e32 v[36:37], v[186:187], v[36:37]
	v_mul_f64_e32 v[186:187], s[18:19], v[8:9]
	v_add_f64_e32 v[40:41], v[194:195], v[40:41]
	v_add_f64_e32 v[38:39], v[192:193], v[38:39]
	v_fma_f64 v[192:193], v[101:102], s[26:27], v[151:152]
	v_fma_f64 v[194:195], v[103:104], s[26:27], -v[153:154]
	v_add_f64_e32 v[42:43], v[196:197], v[42:43]
	v_mul_f64_e32 v[196:197], s[18:19], v[10:11]
	v_mul_f64_e32 v[8:9], s[28:29], v[8:9]
	;; [unrolled: 1-line block ×3, first 2 shown]
	v_add_f64_e32 v[176:177], v[220:221], v[176:177]
	v_fma_f64 v[220:221], v[99:100], s[6:7], v[218:219]
	v_fma_f64 v[218:219], v[99:100], s[6:7], -v[218:219]
	v_add_f64_e32 v[182:183], v[226:227], v[182:183]
	v_fma_f64 v[226:227], v[97:98], s[0:1], -v[4:5]
	v_add_f64_e32 v[32:33], v[172:173], v[32:33]
	v_fma_f64 v[172:173], v[99:100], s[0:1], v[6:7]
	v_fma_f64 v[4:5], v[97:98], s[0:1], v[4:5]
	v_fma_f64 v[6:7], v[99:100], s[0:1], -v[6:7]
	v_add_f64_e32 v[34:35], v[180:181], v[34:35]
	v_fma_f64 v[180:181], v[101:102], s[10:11], -v[184:185]
	v_add_f64_e32 v[206:207], v[236:237], v[206:207]
	v_fma_f64 v[236:237], v[103:104], s[10:11], v[188:189]
	v_add_f64_e32 v[210:211], v[238:239], v[210:211]
	v_mul_f64_e32 v[238:239], s[44:45], v[14:15]
	v_add_f64_e32 v[44:45], v[200:201], v[44:45]
	v_mul_f64_e32 v[200:201], s[44:45], v[12:13]
	v_mul_f64_e32 v[14:15], s[42:43], v[14:15]
	v_fma_f64 v[184:185], v[101:102], s[10:11], v[184:185]
	v_fma_f64 v[188:189], v[103:104], s[10:11], -v[188:189]
	v_add_f64_e32 v[46:47], v[202:203], v[46:47]
	v_fma_f64 v[202:203], v[101:102], s[0:1], -v[204:205]
	v_add_f64_e32 v[222:223], v[240:241], v[222:223]
	v_fma_f64 v[240:241], v[103:104], s[0:1], v[208:209]
	v_mul_f64_e32 v[12:13], s[42:43], v[12:13]
	v_fma_f64 v[204:205], v[101:102], s[0:1], v[204:205]
	v_fma_f64 v[208:209], v[103:104], s[0:1], -v[208:209]
	v_add_f64_e32 v[174:175], v[216:217], v[174:175]
	v_add_f64_e32 v[36:37], v[228:229], v[36:37]
	v_fma_f64 v[228:229], v[107:108], s[10:11], v[133:134]
	v_fma_f64 v[216:217], v[101:102], s[14:15], -v[186:187]
	v_fma_f64 v[186:187], v[101:102], s[14:15], v[186:187]
	v_add_f64_e32 v[40:41], v[192:193], v[40:41]
	v_fma_f64 v[192:193], v[107:108], s[30:31], v[139:140]
	v_add_f64_e32 v[42:43], v[194:195], v[42:43]
	v_fma_f64 v[194:195], v[119:120], s[30:31], -v[143:144]
	v_add_f64_e32 v[16:17], v[60:61], v[68:69]
	v_add_f64_e64 v[18:19], v[68:69], -v[60:61]
	v_mul_f64_e32 v[129:130], s[30:31], v[28:29]
	v_add_f64_e32 v[220:221], v[220:221], v[224:225]
	v_add_f64_e32 v[178:179], v[218:219], v[178:179]
	v_fma_f64 v[218:219], v[103:104], s[14:15], v[196:197]
	v_add_f64_e32 v[226:227], v[226:227], v[230:231]
	v_fma_f64 v[196:197], v[103:104], s[14:15], -v[196:197]
	v_add_f64_e32 v[172:173], v[172:173], v[232:233]
	v_add_f64_e32 v[2:3], v[4:5], v[2:3]
	v_fma_f64 v[4:5], v[101:102], s[30:31], -v[8:9]
	v_add_f64_e32 v[0:1], v[6:7], v[0:1]
	v_fma_f64 v[6:7], v[101:102], s[30:31], v[8:9]
	v_fma_f64 v[8:9], v[103:104], s[30:31], -v[10:11]
	v_mul_f64_e32 v[131:132], s[28:29], v[30:31]
	v_mul_f64_e32 v[157:158], s[6:7], v[28:29]
	;; [unrolled: 1-line block ×3, first 2 shown]
	v_add_f64_e32 v[38:39], v[234:235], v[38:39]
	v_fma_f64 v[234:235], v[119:120], s[10:11], -v[135:136]
	v_add_f64_e64 v[113:114], v[70:71], -v[62:63]
	v_add_f64_e32 v[32:33], v[184:185], v[32:33]
	v_add_f64_e32 v[34:35], v[188:189], v[34:35]
	v_fma_f64 v[184:185], v[107:108], s[0:1], v[190:191]
	v_fma_f64 v[188:189], v[119:120], s[0:1], -v[198:199]
	v_add_f64_e32 v[111:112], v[62:63], v[70:71]
	global_wb scope:SCOPE_SE
	s_barrier_signal -1
	v_add_f64_e32 v[44:45], v[204:205], v[44:45]
	v_add_f64_e32 v[46:47], v[208:209], v[46:47]
	v_fma_f64 v[204:205], v[107:108], s[6:7], v[212:213]
	v_fma_f64 v[208:209], v[119:120], s[6:7], -v[214:215]
	v_add_f64_e32 v[36:37], v[228:229], v[36:37]
	v_fma_f64 v[228:229], v[103:104], s[30:31], v[10:11]
	v_add_f64_e32 v[10:11], v[180:181], v[176:177]
	v_add_f64_e32 v[176:177], v[236:237], v[182:183]
	;; [unrolled: 1-line block ×3, first 2 shown]
	v_fma_f64 v[180:181], v[107:108], s[0:1], -v[190:191]
	v_add_f64_e32 v[42:43], v[194:195], v[42:43]
	v_fma_f64 v[182:183], v[119:120], s[0:1], v[198:199]
	v_mul_f64_e32 v[192:193], s[14:15], v[28:29]
	v_mul_f64_e32 v[194:195], s[18:19], v[30:31]
	v_add_f64_e32 v[190:191], v[202:203], v[206:207]
	v_add_f64_e32 v[198:199], v[240:241], v[210:211]
	v_fma_f64 v[202:203], v[107:108], s[6:7], -v[212:213]
	v_fma_f64 v[206:207], v[119:120], s[6:7], v[214:215]
	v_mul_f64_e32 v[210:211], s[26:27], v[28:29]
	v_mul_f64_e32 v[236:237], s[44:45], v[30:31]
	v_add_f64_e32 v[212:213], v[216:217], v[222:223]
	v_add_f64_e32 v[214:215], v[218:219], v[220:221]
	v_fma_f64 v[216:217], v[107:108], s[26:27], -v[238:239]
	v_fma_f64 v[218:219], v[119:120], s[26:27], v[200:201]
	v_mul_f64_e32 v[220:221], s[0:1], v[28:29]
	v_mul_f64_e32 v[222:223], s[34:35], v[30:31]
	v_add_f64_e32 v[174:175], v[186:187], v[174:175]
	v_add_f64_e32 v[178:179], v[196:197], v[178:179]
	v_fma_f64 v[186:187], v[107:108], s[26:27], v[238:239]
	v_fma_f64 v[196:197], v[119:120], s[26:27], -v[200:201]
	v_add_f64_e32 v[4:5], v[4:5], v[226:227]
	v_fma_f64 v[200:201], v[107:108], s[14:15], -v[14:15]
	v_fma_f64 v[226:227], v[119:120], s[14:15], v[12:13]
	v_mul_f64_e32 v[28:29], s[10:11], v[28:29]
	v_mul_f64_e32 v[30:31], s[22:23], v[30:31]
	v_add_f64_e32 v[2:3], v[6:7], v[2:3]
	v_add_f64_e32 v[0:1], v[8:9], v[0:1]
	v_fma_f64 v[6:7], v[107:108], s[14:15], v[14:15]
	v_fma_f64 v[8:9], v[119:120], s[14:15], -v[12:13]
	v_mul_f64_e32 v[125:126], s[26:27], v[16:17]
	v_mul_f64_e32 v[127:128], s[24:25], v[18:19]
	;; [unrolled: 1-line block ×4, first 2 shown]
	v_add_f64_e32 v[172:173], v[228:229], v[172:173]
	v_fma_f64 v[224:225], v[115:116], s[28:29], v[129:130]
	v_fma_f64 v[230:231], v[117:118], s[30:31], -v[131:132]
	v_fma_f64 v[232:233], v[115:116], s[36:37], v[157:158]
	v_add_f64_e32 v[38:39], v[234:235], v[38:39]
	v_fma_f64 v[234:235], v[117:118], s[6:7], -v[161:162]
	v_add_f64_e32 v[10:11], v[180:181], v[10:11]
	v_add_f64_e32 v[12:13], v[182:183], v[176:177]
	v_fma_f64 v[14:15], v[115:116], s[42:43], v[192:193]
	v_fma_f64 v[176:177], v[117:118], s[14:15], v[194:195]
	v_mul_f64_e32 v[180:181], s[30:31], v[16:17]
	v_mul_f64_e32 v[182:183], s[28:29], v[18:19]
	v_add_f64_e32 v[32:33], v[184:185], v[32:33]
	v_add_f64_e32 v[34:35], v[188:189], v[34:35]
	v_fma_f64 v[184:185], v[115:116], s[18:19], v[192:193]
	v_fma_f64 v[188:189], v[117:118], s[14:15], -v[194:195]
	v_add_f64_e32 v[190:191], v[202:203], v[190:191]
	v_add_f64_e32 v[192:193], v[206:207], v[198:199]
	v_fma_f64 v[194:195], v[115:116], s[24:25], v[210:211]
	v_fma_f64 v[198:199], v[117:118], s[26:27], v[236:237]
	v_mul_f64_e32 v[202:203], s[14:15], v[16:17]
	v_mul_f64_e32 v[206:207], s[42:43], v[18:19]
	v_add_f64_e32 v[44:45], v[204:205], v[44:45]
	v_add_f64_e32 v[46:47], v[208:209], v[46:47]
	v_fma_f64 v[204:205], v[115:116], s[44:45], v[210:211]
	;; [unrolled: 10-line block ×3, first 2 shown]
	v_fma_f64 v[196:197], v[117:118], s[0:1], -v[222:223]
	v_add_f64_e32 v[4:5], v[200:201], v[4:5]
	v_fma_f64 v[200:201], v[115:116], s[38:39], v[28:29]
	v_add_f64_e32 v[172:173], v[226:227], v[172:173]
	v_fma_f64 v[220:221], v[117:118], s[10:11], v[30:31]
	v_mul_f64_e32 v[16:17], s[6:7], v[16:17]
	v_mul_f64_e32 v[18:19], s[36:37], v[18:19]
	v_add_f64_e32 v[2:3], v[6:7], v[2:3]
	v_add_f64_e32 v[0:1], v[8:9], v[0:1]
	v_fma_f64 v[6:7], v[115:116], s[22:23], v[28:29]
	v_fma_f64 v[8:9], v[117:118], s[10:11], -v[30:31]
	v_add_f64_e32 v[28:29], v[224:225], v[36:37]
	v_add_f64_e32 v[30:31], v[230:231], v[38:39]
	v_fma_f64 v[36:37], v[113:114], s[24:25], v[125:126]
	v_fma_f64 v[38:39], v[111:112], s[26:27], -v[127:128]
	;; [unrolled: 4-line block ×3, first 2 shown]
	v_add_f64_e32 v[10:11], v[14:15], v[10:11]
	v_add_f64_e32 v[12:13], v[176:177], v[12:13]
	v_fma_f64 v[14:15], v[113:114], s[40:41], v[180:181]
	v_fma_f64 v[176:177], v[111:112], s[30:31], v[182:183]
	v_add_f64_e32 v[32:33], v[184:185], v[32:33]
	v_add_f64_e32 v[34:35], v[188:189], v[34:35]
	v_fma_f64 v[180:181], v[113:114], s[28:29], v[180:181]
	v_fma_f64 v[182:183], v[111:112], s[30:31], -v[182:183]
	v_add_f64_e32 v[184:185], v[194:195], v[190:191]
	v_add_f64_e32 v[188:189], v[198:199], v[192:193]
	v_fma_f64 v[190:191], v[113:114], s[18:19], v[202:203]
	v_fma_f64 v[192:193], v[111:112], s[14:15], v[206:207]
	v_add_f64_e32 v[194:195], v[204:205], v[44:45]
	v_add_f64_e32 v[198:199], v[208:209], v[46:47]
	v_fma_f64 v[202:203], v[113:114], s[42:43], v[202:203]
	v_fma_f64 v[204:205], v[111:112], s[14:15], -v[206:207]
	;; [unrolled: 8-line block ×4, first 2 shown]
	v_add_f64_e32 v[0:1], v[36:37], v[28:29]
	v_add_f64_e32 v[2:3], v[38:39], v[30:31]
	s_barrier_wait -1
	global_inv scope:SCOPE_SE
	v_add_f64_e32 v[4:5], v[222:223], v[40:41]
	v_add_f64_e32 v[6:7], v[224:225], v[42:43]
	;; [unrolled: 1-line block ×16, first 2 shown]
	v_mul_lo_u16 v172, v168, 13
	v_add_f64_e32 v[28:29], v[226:227], v[218:219]
	v_add_f64_e32 v[30:31], v[228:229], v[220:221]
	s_and_saveexec_b32 s16, vcc_lo
	s_cbranch_execz .LBB0_7
; %bb.6:
	v_add_f64_e32 v[26:27], v[26:27], v[22:23]
	v_add_f64_e32 v[24:25], v[24:25], v[20:21]
	s_delay_alu instid0(VALU_DEP_2) | instskip(NEXT) | instid1(VALU_DEP_2)
	v_add_f64_e32 v[26:27], v[50:51], v[26:27]
	v_add_f64_e32 v[24:25], v[48:49], v[24:25]
	v_mul_f64_e32 v[48:49], s[14:15], v[95:96]
	v_mul_f64_e32 v[50:51], s[14:15], v[93:94]
	s_delay_alu instid0(VALU_DEP_4) | instskip(NEXT) | instid1(VALU_DEP_4)
	v_add_f64_e32 v[26:27], v[54:55], v[26:27]
	v_add_f64_e32 v[24:25], v[52:53], v[24:25]
	v_mul_f64_e32 v[52:53], s[0:1], v[95:96]
	v_mul_f64_e32 v[54:55], s[0:1], v[93:94]
	v_add_f64_e32 v[48:49], v[123:124], v[48:49]
	v_add_f64_e64 v[50:51], v[50:51], -v[121:122]
	v_mul_f64_e32 v[93:94], s[26:27], v[101:102]
	v_mul_f64_e32 v[95:96], s[26:27], v[103:104]
	v_add_f64_e32 v[26:27], v[66:67], v[26:27]
	v_add_f64_e32 v[24:25], v[64:65], v[24:25]
	v_mul_f64_e32 v[64:65], s[10:11], v[99:100]
	v_mul_f64_e32 v[66:67], s[10:11], v[97:98]
	v_add_f64_e32 v[52:53], v[109:110], v[52:53]
	v_add_f64_e64 v[54:55], v[54:55], -v[105:106]
	v_add_f64_e32 v[48:49], v[22:23], v[48:49]
	v_add_f64_e32 v[50:51], v[20:21], v[50:51]
	v_add_f64_e32 v[95:96], v[153:154], v[95:96]
	v_add_f64_e64 v[93:94], v[93:94], -v[151:152]
	v_add_f64_e32 v[26:27], v[74:75], v[26:27]
	v_add_f64_e32 v[24:25], v[72:73], v[24:25]
	v_mul_f64_e32 v[72:73], s[14:15], v[99:100]
	v_mul_f64_e32 v[74:75], s[14:15], v[97:98]
	v_add_f64_e32 v[64:65], v[155:156], v[64:65]
	v_add_f64_e64 v[66:67], v[66:67], -v[149:150]
	v_add_f64_e32 v[22:23], v[22:23], v[52:53]
	v_add_f64_e32 v[20:21], v[20:21], v[54:55]
	v_mul_f64_e32 v[52:53], s[10:11], v[107:108]
	v_mul_f64_e32 v[54:55], s[10:11], v[119:120]
	v_add_f64_e32 v[26:27], v[70:71], v[26:27]
	v_add_f64_e32 v[24:25], v[68:69], v[24:25]
	v_mul_f64_e32 v[68:69], s[6:7], v[101:102]
	v_mul_f64_e32 v[70:71], s[6:7], v[103:104]
	v_add_f64_e32 v[72:73], v[147:148], v[72:73]
	v_add_f64_e64 v[74:75], v[74:75], -v[145:146]
	v_add_f64_e32 v[48:49], v[64:65], v[48:49]
	v_add_f64_e32 v[50:51], v[66:67], v[50:51]
	v_mul_f64_e32 v[64:65], s[36:37], v[115:116]
	v_mul_f64_e32 v[66:67], s[6:7], v[117:118]
	v_add_f64_e32 v[54:55], v[135:136], v[54:55]
	v_add_f64_e64 v[52:53], v[52:53], -v[133:134]
	;; [unrolled: 6-line block ×3, first 2 shown]
	v_add_f64_e32 v[22:23], v[72:73], v[22:23]
	v_add_f64_e32 v[20:21], v[74:75], v[20:21]
	;; [unrolled: 1-line block ×4, first 2 shown]
	v_mul_f64_e32 v[72:73], s[34:35], v[113:114]
	v_mul_f64_e32 v[74:75], s[0:1], v[111:112]
	v_add_f64_e32 v[66:67], v[66:67], v[161:162]
	v_add_f64_e64 v[64:65], v[157:158], -v[64:65]
	v_add_f64_e32 v[26:27], v[58:59], v[26:27]
	v_add_f64_e32 v[24:25], v[56:57], v[24:25]
	v_add_f64_e64 v[60:61], v[60:61], -v[139:140]
	v_add_f64_e32 v[62:63], v[143:144], v[62:63]
	v_mul_f64_e32 v[56:57], s[28:29], v[115:116]
	v_mul_f64_e32 v[58:59], s[30:31], v[117:118]
	v_add_f64_e32 v[22:23], v[70:71], v[22:23]
	v_add_f64_e32 v[20:21], v[68:69], v[20:21]
	v_mul_f64_e32 v[68:69], s[24:25], v[113:114]
	v_mul_f64_e32 v[70:71], s[26:27], v[111:112]
	v_add_f64_e32 v[26:27], v[82:83], v[26:27]
	v_add_f64_e32 v[24:25], v[80:81], v[24:25]
	;; [unrolled: 1-line block ×4, first 2 shown]
	v_add_f64_e64 v[56:57], v[129:130], -v[56:57]
	v_add_f64_e32 v[58:59], v[58:59], v[131:132]
	v_add_f64_e32 v[22:23], v[54:55], v[22:23]
	;; [unrolled: 1-line block ×4, first 2 shown]
	v_add_f64_e64 v[54:55], v[159:160], -v[72:73]
	v_add_f64_e32 v[60:61], v[70:71], v[127:128]
	v_add_f64_e64 v[62:63], v[125:126], -v[68:69]
	v_add_f64_e32 v[26:27], v[78:79], v[26:27]
	v_add_f64_e32 v[24:25], v[76:77], v[24:25]
	;; [unrolled: 1-line block ×10, first 2 shown]
	v_and_b32_e32 v52, 0xffff, v172
	v_add_f64_e32 v[26:27], v[60:61], v[58:59]
	s_delay_alu instid0(VALU_DEP_2)
	v_add_lshl_u32 v52, v169, v52, 4
	v_add_f64_e32 v[50:51], v[90:91], v[64:65]
	v_add_f64_e32 v[48:49], v[88:89], v[24:25]
	;; [unrolled: 1-line block ×3, first 2 shown]
	ds_store_b128 v52, v[40:43] offset:64
	ds_store_b128 v52, v[36:39] offset:80
	;; [unrolled: 1-line block ×10, first 2 shown]
	ds_store_b128 v52, v[48:51]
	ds_store_b128 v52, v[24:27] offset:16
	ds_store_b128 v52, v[0:3] offset:192
.LBB0_7:
	s_wait_alu 0xfffe
	s_or_b32 exec_lo, exec_lo, s16
	v_lshlrev_b32_e32 v20, 5, v168
	s_load_b128 s[0:3], s[2:3], 0x0
	global_wb scope:SCOPE_SE
	s_wait_dscnt 0x0
	s_wait_kmcnt 0x0
	s_barrier_signal -1
	s_barrier_wait -1
	global_inv scope:SCOPE_SE
	s_clause 0x1
	global_load_b128 v[24:27], v20, s[4:5]
	global_load_b128 v[20:23], v20, s[4:5] offset:16
	v_add_lshl_u32 v73, v169, v168, 4
	ds_load_b128 v[48:51], v73 offset:208
	ds_load_b128 v[52:55], v73 offset:416
	s_mov_b32 s4, 0xe8584caa
	s_mov_b32 s5, 0x3febb67a
	;; [unrolled: 1-line block ×3, first 2 shown]
	s_wait_alu 0xfffe
	s_mov_b32 s6, s4
	v_lshl_add_u32 v72, v168, 4, v171
	s_wait_loadcnt_dscnt 0x101
	v_mul_f64_e32 v[56:57], v[50:51], v[26:27]
	s_wait_loadcnt_dscnt 0x0
	v_mul_f64_e32 v[58:59], v[54:55], v[22:23]
	v_mul_f64_e32 v[60:61], v[48:49], v[26:27]
	;; [unrolled: 1-line block ×3, first 2 shown]
	s_delay_alu instid0(VALU_DEP_4) | instskip(NEXT) | instid1(VALU_DEP_4)
	v_fma_f64 v[56:57], v[48:49], v[24:25], -v[56:57]
	v_fma_f64 v[52:53], v[52:53], v[20:21], -v[58:59]
	s_delay_alu instid0(VALU_DEP_4) | instskip(NEXT) | instid1(VALU_DEP_4)
	v_fma_f64 v[58:59], v[50:51], v[24:25], v[60:61]
	v_fma_f64 v[54:55], v[54:55], v[20:21], v[62:63]
	ds_load_b128 v[48:51], v73
	s_wait_dscnt 0x0
	v_add_f64_e32 v[64:65], v[48:49], v[56:57]
	v_add_f64_e32 v[60:61], v[56:57], v[52:53]
	v_add_f64_e64 v[68:69], v[56:57], -v[52:53]
	v_add_f64_e32 v[62:63], v[58:59], v[54:55]
	v_add_f64_e64 v[66:67], v[58:59], -v[54:55]
	v_add_f64_e32 v[58:59], v[50:51], v[58:59]
	v_fma_f64 v[60:61], v[60:61], -0.5, v[48:49]
	v_add_f64_e32 v[48:49], v[64:65], v[52:53]
	v_fma_f64 v[62:63], v[62:63], -0.5, v[50:51]
	s_delay_alu instid0(VALU_DEP_4) | instskip(NEXT) | instid1(VALU_DEP_4)
	v_add_f64_e32 v[50:51], v[58:59], v[54:55]
	v_fma_f64 v[56:57], v[66:67], s[4:5], v[60:61]
	s_wait_alu 0xfffe
	v_fma_f64 v[52:53], v[66:67], s[6:7], v[60:61]
	s_delay_alu instid0(VALU_DEP_4)
	v_fma_f64 v[58:59], v[68:69], s[6:7], v[62:63]
	v_fma_f64 v[54:55], v[68:69], s[4:5], v[62:63]
	ds_store_b128 v72, v[48:51]
	ds_store_b128 v72, v[56:59] offset:208
	ds_store_b128 v72, v[52:55] offset:416
	global_wb scope:SCOPE_SE
	s_wait_dscnt 0x0
	s_barrier_signal -1
	s_barrier_wait -1
	global_inv scope:SCOPE_SE
	s_and_saveexec_b32 s6, vcc_lo
	s_cbranch_execz .LBB0_9
; %bb.8:
	s_add_nc_u64 s[4:5], s[12:13], 0x270
	s_clause 0xc
	global_load_b128 v[60:63], v170, s[12:13] offset:624
	global_load_b128 v[64:67], v170, s[4:5] offset:48
	global_load_b128 v[68:71], v170, s[4:5] offset:96
	global_load_b128 v[74:77], v170, s[4:5] offset:144
	global_load_b128 v[78:81], v170, s[4:5] offset:192
	global_load_b128 v[82:85], v170, s[4:5] offset:240
	global_load_b128 v[86:89], v170, s[4:5] offset:288
	global_load_b128 v[93:96], v170, s[4:5] offset:336
	global_load_b128 v[97:100], v170, s[4:5] offset:384
	global_load_b128 v[101:104], v170, s[4:5] offset:432
	global_load_b128 v[105:108], v170, s[4:5] offset:480
	global_load_b128 v[109:112], v170, s[4:5] offset:528
	global_load_b128 v[113:116], v170, s[4:5] offset:576
	ds_load_b128 v[117:120], v72
	ds_load_b128 v[121:124], v72 offset:48
	ds_load_b128 v[125:128], v72 offset:96
	;; [unrolled: 1-line block ×12, first 2 shown]
	s_wait_loadcnt_dscnt 0xc0c
	v_mul_f64_e32 v[90:91], v[119:120], v[62:63]
	v_mul_f64_e32 v[62:63], v[117:118], v[62:63]
	s_wait_loadcnt_dscnt 0xb0b
	v_mul_f64_e32 v[177:178], v[123:124], v[66:67]
	v_mul_f64_e32 v[66:67], v[121:122], v[66:67]
	;; [unrolled: 3-line block ×13, first 2 shown]
	v_fma_f64 v[88:89], v[117:118], v[60:61], -v[90:91]
	v_fma_f64 v[90:91], v[119:120], v[60:61], v[62:63]
	v_fma_f64 v[60:61], v[121:122], v[64:65], -v[177:178]
	v_fma_f64 v[62:63], v[123:124], v[64:65], v[66:67]
	;; [unrolled: 2-line block ×13, first 2 shown]
	ds_store_b128 v72, v[88:91]
	ds_store_b128 v72, v[60:63] offset:48
	ds_store_b128 v72, v[64:67] offset:96
	;; [unrolled: 1-line block ×12, first 2 shown]
.LBB0_9:
	s_wait_alu 0xfffe
	s_or_b32 exec_lo, exec_lo, s6
	global_wb scope:SCOPE_SE
	s_wait_dscnt 0x0
	s_barrier_signal -1
	s_barrier_wait -1
	global_inv scope:SCOPE_SE
	s_and_saveexec_b32 s4, vcc_lo
	s_cbranch_execz .LBB0_11
; %bb.10:
	ds_load_b128 v[48:51], v72
	ds_load_b128 v[56:59], v72 offset:48
	ds_load_b128 v[52:55], v72 offset:96
	;; [unrolled: 1-line block ×12, first 2 shown]
.LBB0_11:
	s_wait_alu 0xfffe
	s_or_b32 exec_lo, exec_lo, s4
	global_wb scope:SCOPE_SE
	s_wait_dscnt 0x0
	s_barrier_signal -1
	s_barrier_wait -1
	global_inv scope:SCOPE_SE
	s_and_saveexec_b32 s33, vcc_lo
	s_cbranch_execz .LBB0_13
; %bb.12:
	v_add_f64_e64 v[60:61], v[56:57], -v[0:1]
	v_add_f64_e64 v[62:63], v[58:59], -v[2:3]
	v_add_f64_e32 v[74:75], v[58:59], v[50:51]
	v_add_f64_e32 v[76:77], v[56:57], v[48:49]
	s_mov_b32 s4, 0x4bc48dbf
	s_mov_b32 s16, 0x24c2f84
	;; [unrolled: 1-line block ×4, first 2 shown]
	v_add_f64_e64 v[80:81], v[52:53], -v[4:5]
	v_add_f64_e32 v[82:83], v[58:59], v[2:3]
	v_add_f64_e64 v[84:85], v[54:55], -v[6:7]
	v_add_f64_e32 v[86:87], v[56:57], v[0:1]
	v_add_f64_e32 v[103:104], v[54:55], v[6:7]
	;; [unrolled: 1-line block ×3, first 2 shown]
	s_mov_b32 s20, 0x66966769
	s_mov_b32 s6, 0x2ef20147
	;; [unrolled: 1-line block ×8, first 2 shown]
	v_add_f64_e64 v[90:91], v[44:45], -v[8:9]
	v_add_f64_e64 v[111:112], v[46:47], -v[10:11]
	v_add_f64_e32 v[93:94], v[46:47], v[10:11]
	v_add_f64_e32 v[115:116], v[44:45], v[8:9]
	s_mov_b32 s28, 0xebaa3ed8
	s_mov_b32 s14, 0x42a4c3d2
	s_mov_b32 s30, 0xe00740e9
	s_mov_b32 s29, 0x3fbedb7d
	s_mov_b32 s15, 0x3fea55e2
	s_mov_b32 s31, 0x3fec55a7
	s_mov_b32 s39, 0xbfea55e2
	s_wait_alu 0xfffe
	s_mov_b32 s38, s14
	s_mov_b32 s40, s16
	v_add_f64_e64 v[78:79], v[40:41], -v[12:13]
	v_add_f64_e64 v[109:110], v[42:43], -v[14:15]
	v_add_f64_e32 v[88:89], v[42:43], v[14:15]
	v_mul_f64_e32 v[95:96], s[4:5], v[60:61]
	v_mul_f64_e32 v[97:98], s[4:5], v[62:63]
	;; [unrolled: 1-line block ×4, first 2 shown]
	v_add_f64_e32 v[54:55], v[54:55], v[74:75]
	v_add_f64_e32 v[52:53], v[52:53], v[76:77]
	v_mul_f64_e32 v[74:75], s[6:7], v[60:61]
	v_add_f64_e32 v[113:114], v[40:41], v[12:13]
	v_mul_f64_e32 v[76:77], s[18:19], v[80:81]
	v_mul_f64_e32 v[121:122], s[20:21], v[80:81]
	;; [unrolled: 1-line block ×4, first 2 shown]
	s_wait_alu 0xfffe
	v_mul_f64_e32 v[157:158], s[40:41], v[80:81]
	s_mov_b32 s22, 0x1ea71119
	s_mov_b32 s23, 0x3fe22d96
	;; [unrolled: 1-line block ×6, first 2 shown]
	v_add_f64_e64 v[70:71], v[36:37], -v[16:17]
	v_add_f64_e32 v[105:106], v[28:29], v[32:33]
	v_add_f64_e32 v[107:108], v[16:17], v[36:37]
	v_mul_f64_e32 v[139:140], s[16:17], v[90:91]
	v_mul_f64_e32 v[147:148], s[16:17], v[111:112]
	;; [unrolled: 1-line block ×6, first 2 shown]
	s_wait_alu 0xfffe
	v_mul_f64_e32 v[205:206], s[42:43], v[60:61]
	v_mul_f64_e32 v[211:212], s[42:43], v[62:63]
	;; [unrolled: 1-line block ×3, first 2 shown]
	s_mov_b32 s37, 0xbfddbe06
	s_mov_b32 s36, s18
	v_add_f64_e32 v[68:69], v[18:19], v[38:39]
	v_add_f64_e64 v[58:59], v[38:39], -v[18:19]
	v_mul_f64_e32 v[137:138], s[14:15], v[78:79]
	v_mul_f64_e32 v[145:146], s[14:15], v[109:110]
	;; [unrolled: 1-line block ×3, first 2 shown]
	v_fma_f64 v[125:126], v[82:83], s[26:27], v[95:96]
	v_fma_f64 v[127:128], v[86:87], s[26:27], -v[97:98]
	v_fma_f64 v[95:96], v[82:83], s[26:27], -v[95:96]
	v_fma_f64 v[97:98], v[86:87], s[26:27], v[97:98]
	v_fma_f64 v[129:130], v[82:83], s[24:25], v[99:100]
	v_fma_f64 v[131:132], v[86:87], s[24:25], -v[101:102]
	v_add_f64_e32 v[46:47], v[46:47], v[54:55]
	v_add_f64_e32 v[44:45], v[44:45], v[52:53]
	v_fma_f64 v[52:53], v[82:83], s[24:25], -v[99:100]
	v_fma_f64 v[54:55], v[86:87], s[24:25], v[101:102]
	v_fma_f64 v[99:100], v[82:83], s[10:11], v[74:75]
	;; [unrolled: 1-line block ×3, first 2 shown]
	v_fma_f64 v[179:180], v[117:118], s[30:31], -v[119:120]
	v_fma_f64 v[76:77], v[103:104], s[30:31], -v[76:77]
	v_fma_f64 v[119:120], v[117:118], s[30:31], v[119:120]
	v_fma_f64 v[181:182], v[103:104], s[28:29], v[121:122]
	v_fma_f64 v[183:184], v[117:118], s[28:29], -v[123:124]
	v_mul_f64_e32 v[163:164], s[34:35], v[109:110]
	v_fma_f64 v[121:122], v[103:104], s[28:29], -v[121:122]
	v_fma_f64 v[123:124], v[117:118], s[28:29], v[123:124]
	v_fma_f64 v[221:222], v[103:104], s[24:25], v[157:158]
	s_wait_alu 0xfffe
	v_mul_f64_e32 v[60:61], s[36:37], v[60:61]
	v_fma_f64 v[223:224], v[93:94], s[24:25], v[139:140]
	v_fma_f64 v[225:226], v[115:116], s[24:25], -v[147:148]
	v_fma_f64 v[139:140], v[93:94], s[24:25], -v[139:140]
	v_fma_f64 v[147:148], v[115:116], s[24:25], v[147:148]
	v_fma_f64 v[227:228], v[93:94], s[22:23], v[155:156]
	v_fma_f64 v[229:230], v[115:116], s[22:23], -v[173:174]
	v_add_f64_e64 v[56:57], v[34:35], -v[30:31]
	v_mul_f64_e32 v[135:136], s[6:7], v[70:71]
	v_mul_f64_e32 v[141:142], s[28:29], v[105:106]
	;; [unrolled: 1-line block ×9, first 2 shown]
	v_add_f64_e32 v[125:126], v[50:51], v[125:126]
	v_add_f64_e32 v[127:128], v[48:49], v[127:128]
	;; [unrolled: 1-line block ×11, first 2 shown]
	v_mul_f64_e32 v[215:216], s[6:7], v[80:81]
	v_mul_f64_e32 v[80:81], s[38:39], v[80:81]
	v_fma_f64 v[155:156], v[93:94], s[22:23], -v[155:156]
	v_fma_f64 v[173:174], v[115:116], s[22:23], v[173:174]
	v_fma_f64 v[231:232], v[88:89], s[26:27], v[153:154]
	v_fma_f64 v[235:236], v[86:87], s[10:11], -v[199:200]
	v_fma_f64 v[233:234], v[113:114], s[26:27], -v[163:164]
	v_fma_f64 v[74:75], v[82:83], s[10:11], -v[74:75]
	v_fma_f64 v[199:200], v[86:87], s[10:11], v[199:200]
	v_fma_f64 v[237:238], v[82:83], s[28:29], v[205:206]
	v_fma_f64 v[239:240], v[86:87], s[28:29], -v[211:212]
	v_fma_f64 v[205:206], v[82:83], s[28:29], -v[205:206]
	v_fma_f64 v[211:212], v[86:87], s[28:29], v[211:212]
	v_add_f64_e32 v[64:65], v[30:31], v[34:35]
	v_add_f64_e64 v[66:67], v[32:33], -v[28:29]
	s_mov_b32 s45, 0x3fedeba7
	s_mov_b32 s44, s6
	v_mul_f64_e32 v[195:196], s[18:19], v[111:112]
	s_wait_alu 0xfffe
	v_mul_f64_e32 v[201:202], s[44:45], v[90:91]
	v_mul_f64_e32 v[207:208], s[44:45], v[111:112]
	;; [unrolled: 1-line block ×4, first 2 shown]
	v_fma_f64 v[153:154], v[88:89], s[26:27], -v[153:154]
	v_fma_f64 v[157:158], v[103:104], s[24:25], -v[157:158]
	v_mul_f64_e32 v[90:91], s[42:43], v[90:91]
	v_mul_f64_e32 v[111:112], s[42:43], v[111:112]
	v_fma_f64 v[163:164], v[113:114], s[26:27], v[163:164]
	v_add_f64_e32 v[44:45], v[101:102], v[125:126]
	v_add_f64_e32 v[46:47], v[179:180], v[127:128]
	;; [unrolled: 1-line block ×6, first 2 shown]
	v_mul_f64_e32 v[125:126], s[38:39], v[62:63]
	v_mul_f64_e32 v[62:63], s[36:37], v[62:63]
	v_add_f64_e32 v[38:39], v[38:39], v[42:43]
	v_add_f64_e32 v[36:37], v[36:37], v[40:41]
	v_mul_f64_e32 v[119:120], s[6:7], v[84:85]
	v_fma_f64 v[131:132], v[88:89], s[22:23], v[137:138]
	v_fma_f64 v[181:182], v[93:94], s[30:31], v[187:188]
	v_fma_f64 v[183:184], v[113:114], s[22:23], -v[145:146]
	v_fma_f64 v[137:138], v[88:89], s[22:23], -v[137:138]
	v_fma_f64 v[145:146], v[113:114], s[22:23], v[145:146]
	v_add_f64_e32 v[52:53], v[121:122], v[52:53]
	v_add_f64_e32 v[54:55], v[123:124], v[54:55]
	;; [unrolled: 1-line block ×3, first 2 shown]
	v_fma_f64 v[121:122], v[82:83], s[22:23], -v[217:218]
	v_mul_f64_e32 v[84:85], s[38:39], v[84:85]
	v_fma_f64 v[129:130], v[68:69], s[10:11], v[135:136]
	v_fma_f64 v[179:180], v[56:57], s[42:43], v[141:142]
	v_fma_f64 v[135:136], v[68:69], s[10:11], -v[135:136]
	v_fma_f64 v[221:222], v[58:59], s[36:37], v[161:162]
	v_add_f64_e32 v[74:75], v[50:51], v[74:75]
	v_mul_f64_e32 v[193:194], s[42:43], v[109:110]
	v_mul_f64_e32 v[191:192], s[26:27], v[107:108]
	;; [unrolled: 1-line block ×8, first 2 shown]
	v_fma_f64 v[161:162], v[58:59], s[18:19], v[161:162]
	v_add_f64_e32 v[40:41], v[223:224], v[44:45]
	v_add_f64_e32 v[42:43], v[225:226], v[46:47]
	;; [unrolled: 1-line block ×6, first 2 shown]
	v_fma_f64 v[97:98], v[82:83], s[22:23], v[217:218]
	v_fma_f64 v[101:102], v[86:87], s[22:23], -v[125:126]
	v_fma_f64 v[123:124], v[86:87], s[22:23], v[125:126]
	v_fma_f64 v[125:126], v[82:83], s[30:31], v[60:61]
	v_fma_f64 v[60:61], v[82:83], s[30:31], -v[60:61]
	v_fma_f64 v[82:83], v[86:87], s[30:31], -v[62:63]
	v_fma_f64 v[62:63], v[86:87], s[30:31], v[62:63]
	v_add_f64_e32 v[34:35], v[34:35], v[38:39]
	v_add_f64_e32 v[32:33], v[32:33], v[36:37]
	v_fma_f64 v[86:87], v[58:59], s[44:45], v[143:144]
	v_fma_f64 v[139:140], v[56:57], s[20:21], v[141:142]
	;; [unrolled: 1-line block ×5, first 2 shown]
	v_fma_f64 v[225:226], v[117:118], s[24:25], -v[197:198]
	v_fma_f64 v[197:198], v[117:118], s[24:25], v[197:198]
	v_fma_f64 v[227:228], v[103:104], s[26:27], v[203:204]
	v_fma_f64 v[229:230], v[117:118], s[26:27], -v[209:210]
	v_add_f64_e32 v[52:53], v[155:156], v[52:53]
	v_add_f64_e32 v[54:55], v[173:174], v[54:55]
	;; [unrolled: 1-line block ×3, first 2 shown]
	v_fma_f64 v[155:156], v[117:118], s[10:11], -v[119:120]
	v_add_f64_e32 v[173:174], v[50:51], v[237:238]
	v_fma_f64 v[181:182], v[103:104], s[10:11], -v[215:216]
	v_fma_f64 v[119:120], v[117:118], s[10:11], v[119:120]
	v_add_f64_e32 v[121:122], v[50:51], v[121:122]
	v_fma_f64 v[151:152], v[68:69], s[30:31], -v[151:152]
	v_fma_f64 v[143:144], v[64:65], s[10:11], v[149:150]
	v_fma_f64 v[217:218], v[56:57], s[44:45], v[159:160]
	;; [unrolled: 1-line block ×3, first 2 shown]
	v_fma_f64 v[133:134], v[64:65], s[28:29], -v[133:134]
	v_add_f64_e32 v[36:37], v[131:132], v[40:41]
	v_add_f64_e32 v[38:39], v[183:184], v[42:43]
	;; [unrolled: 1-line block ×7, first 2 shown]
	v_fma_f64 v[95:96], v[103:104], s[26:27], -v[203:204]
	v_fma_f64 v[131:132], v[117:118], s[26:27], v[209:210]
	v_add_f64_e32 v[137:138], v[48:49], v[199:200]
	v_fma_f64 v[145:146], v[103:104], s[10:11], v[215:216]
	v_add_f64_e32 v[183:184], v[48:49], v[239:240]
	;; [unrolled: 2-line block ×3, first 2 shown]
	v_fma_f64 v[80:81], v[103:104], s[22:23], -v[80:81]
	v_add_f64_e32 v[103:104], v[48:49], v[211:212]
	v_add_f64_e32 v[97:98], v[50:51], v[97:98]
	;; [unrolled: 1-line block ×4, first 2 shown]
	v_fma_f64 v[205:206], v[117:118], s[22:23], -v[84:85]
	v_fma_f64 v[84:85], v[117:118], s[22:23], v[84:85]
	v_add_f64_e32 v[125:126], v[50:51], v[125:126]
	v_add_f64_e32 v[82:83], v[48:49], v[82:83]
	;; [unrolled: 1-line block ×6, first 2 shown]
	v_fma_f64 v[209:210], v[115:116], s[30:31], -v[195:196]
	v_add_f64_e32 v[52:53], v[153:154], v[52:53]
	v_add_f64_e32 v[60:61], v[223:224], v[99:100]
	;; [unrolled: 1-line block ×3, first 2 shown]
	v_fma_f64 v[74:75], v[115:116], s[30:31], v[195:196]
	v_fma_f64 v[99:100], v[93:94], s[10:11], v[201:202]
	v_fma_f64 v[153:154], v[115:116], s[10:11], v[207:208]
	v_add_f64_e32 v[121:122], v[181:182], v[121:122]
	v_fma_f64 v[157:158], v[93:94], s[26:27], v[213:214]
	v_add_f64_e32 v[54:55], v[163:164], v[54:55]
	v_fma_f64 v[163:164], v[115:116], s[26:27], -v[219:220]
	v_add_f64_e32 v[32:33], v[129:130], v[36:37]
	v_add_f64_e32 v[34:35], v[86:87], v[38:39]
	;; [unrolled: 1-line block ×7, first 2 shown]
	v_fma_f64 v[46:47], v[93:94], s[30:31], -v[187:188]
	v_mul_f64_e32 v[86:87], s[18:19], v[78:79]
	v_add_f64_e32 v[76:77], v[197:198], v[137:138]
	v_add_f64_e32 v[129:130], v[227:228], v[173:174]
	v_mul_f64_e32 v[135:136], s[18:19], v[109:110]
	v_fma_f64 v[137:138], v[115:116], s[10:11], -v[207:208]
	v_add_f64_e32 v[141:142], v[229:230], v[183:184]
	v_fma_f64 v[147:148], v[93:94], s[10:11], -v[201:202]
	v_add_f64_e32 v[95:96], v[95:96], v[203:204]
	v_add_f64_e32 v[103:104], v[131:132], v[103:104]
	v_mul_f64_e32 v[131:132], s[40:41], v[78:79]
	v_add_f64_e32 v[97:98], v[145:146], v[97:98]
	v_mul_f64_e32 v[145:146], s[40:41], v[109:110]
	v_add_f64_e32 v[101:102], v[155:156], v[101:102]
	v_fma_f64 v[155:156], v[93:94], s[26:27], -v[213:214]
	v_fma_f64 v[173:174], v[115:116], s[26:27], v[219:220]
	v_add_f64_e32 v[119:120], v[119:120], v[123:124]
	v_mul_f64_e32 v[78:79], s[6:7], v[78:79]
	v_fma_f64 v[123:124], v[93:94], s[28:29], v[90:91]
	v_mul_f64_e32 v[109:110], s[6:7], v[109:110]
	v_fma_f64 v[90:91], v[93:94], s[28:29], -v[90:91]
	v_add_f64_e32 v[50:51], v[80:81], v[50:51]
	v_fma_f64 v[80:81], v[115:116], s[28:29], v[111:112]
	v_add_f64_e32 v[18:19], v[18:19], v[30:31]
	v_add_f64_e32 v[30:31], v[84:85], v[48:49]
	;; [unrolled: 1-line block ×4, first 2 shown]
	v_fma_f64 v[48:49], v[115:116], s[28:29], -v[111:112]
	v_add_f64_e32 v[82:83], v[205:206], v[82:83]
	v_fma_f64 v[84:85], v[113:114], s[28:29], -v[193:194]
	v_fma_f64 v[93:94], v[88:89], s[28:29], -v[185:186]
	v_mul_f64_e32 v[115:116], s[22:23], v[107:108]
	v_fma_f64 v[117:118], v[68:69], s[26:27], v[177:178]
	v_add_f64_e32 v[54:55], v[161:162], v[54:55]
	v_add_f64_e32 v[44:45], v[209:210], v[44:45]
	v_add_f64_e32 v[46:47], v[46:47], v[62:63]
	v_fma_f64 v[111:112], v[88:89], s[30:31], v[86:87]
	v_add_f64_e32 v[74:75], v[74:75], v[76:77]
	v_mul_f64_e32 v[76:77], s[38:39], v[70:71]
	v_add_f64_e32 v[99:100], v[99:100], v[129:130]
	v_fma_f64 v[125:126], v[113:114], s[30:31], -v[135:136]
	v_add_f64_e32 v[129:130], v[137:138], v[141:142]
	v_fma_f64 v[86:87], v[88:89], s[30:31], -v[86:87]
	v_add_f64_e32 v[95:96], v[147:148], v[95:96]
	v_fma_f64 v[135:136], v[113:114], s[30:31], v[135:136]
	v_add_f64_e32 v[103:104], v[153:154], v[103:104]
	v_mul_f64_e32 v[137:138], s[20:21], v[70:71]
	v_fma_f64 v[141:142], v[88:89], s[24:25], v[131:132]
	v_mul_f64_e32 v[147:148], s[28:29], v[107:108]
	v_fma_f64 v[153:154], v[113:114], s[24:25], -v[145:146]
	v_fma_f64 v[131:132], v[88:89], s[24:25], -v[131:132]
	v_add_f64_e32 v[121:122], v[155:156], v[121:122]
	v_fma_f64 v[145:146], v[113:114], s[24:25], v[145:146]
	v_add_f64_e32 v[119:120], v[173:174], v[119:120]
	v_fma_f64 v[62:63], v[113:114], s[28:29], v[193:194]
	v_add_f64_e32 v[97:98], v[157:158], v[97:98]
	v_mul_f64_e32 v[70:71], s[16:17], v[70:71]
	v_fma_f64 v[155:156], v[88:89], s[10:11], v[78:79]
	v_mul_f64_e32 v[107:108], s[24:25], v[107:108]
	v_fma_f64 v[78:79], v[88:89], s[10:11], -v[78:79]
	v_add_f64_e32 v[50:51], v[90:91], v[50:51]
	v_fma_f64 v[88:89], v[113:114], s[10:11], v[109:110]
	v_add_f64_e32 v[14:15], v[14:15], v[18:19]
	v_add_f64_e32 v[18:19], v[80:81], v[30:31]
	;; [unrolled: 1-line block ×5, first 2 shown]
	v_fma_f64 v[28:29], v[113:114], s[10:11], -v[109:110]
	v_add_f64_e32 v[30:31], v[48:49], v[82:83]
	v_fma_f64 v[82:83], v[58:59], s[34:35], v[191:192]
	v_fma_f64 v[48:49], v[58:59], s[4:5], v[191:192]
	v_fma_f64 v[80:81], v[68:69], s[26:27], -v[177:178]
	v_add_f64_e32 v[44:45], v[84:85], v[44:45]
	v_add_f64_e32 v[46:47], v[93:94], v[46:47]
	v_mul_f64_e32 v[93:94], s[24:25], v[105:106]
	v_add_f64_e32 v[60:61], v[117:118], v[60:61]
	v_fma_f64 v[84:85], v[68:69], s[22:23], v[76:77]
	v_add_f64_e32 v[90:91], v[111:112], v[99:100]
	v_fma_f64 v[99:100], v[58:59], s[14:15], v[115:116]
	v_add_f64_e32 v[109:110], v[125:126], v[129:130]
	v_fma_f64 v[76:77], v[68:69], s[22:23], -v[76:77]
	v_add_f64_e32 v[86:87], v[86:87], v[95:96]
	v_fma_f64 v[95:96], v[58:59], s[38:39], v[115:116]
	v_add_f64_e32 v[103:104], v[135:136], v[103:104]
	v_mul_f64_e32 v[111:112], s[18:19], v[66:67]
	v_mul_f64_e32 v[115:116], s[30:31], v[105:106]
	v_fma_f64 v[125:126], v[68:69], s[28:29], -v[137:138]
	v_fma_f64 v[129:130], v[58:59], s[20:21], v[147:148]
	v_fma_f64 v[113:114], v[68:69], s[28:29], v[137:138]
	v_add_f64_e32 v[121:122], v[131:132], v[121:122]
	v_mul_f64_e32 v[105:106], s[26:27], v[105:106]
	v_add_f64_e32 v[119:120], v[145:146], v[119:120]
	v_add_f64_e32 v[62:63], v[62:63], v[74:75]
	v_mul_f64_e32 v[74:75], s[16:17], v[66:67]
	v_add_f64_e32 v[97:98], v[141:142], v[97:98]
	v_mul_f64_e32 v[66:67], s[4:5], v[66:67]
	v_fma_f64 v[131:132], v[68:69], s[24:25], v[70:71]
	v_fma_f64 v[68:69], v[68:69], s[24:25], -v[70:71]
	v_add_f64_e32 v[50:51], v[78:79], v[50:51]
	v_fma_f64 v[70:71], v[58:59], s[16:17], v[107:108]
	v_add_f64_e32 v[10:11], v[10:11], v[14:15]
	v_add_f64_e32 v[14:15], v[88:89], v[18:19]
	;; [unrolled: 1-line block ×3, first 2 shown]
	v_fma_f64 v[123:124], v[58:59], s[42:43], v[147:148]
	v_add_f64_e32 v[101:102], v[153:154], v[101:102]
	v_add_f64_e32 v[12:13], v[155:156], v[16:17]
	v_fma_f64 v[16:17], v[58:59], s[40:41], v[107:108]
	v_add_f64_e32 v[18:19], v[28:29], v[30:31]
	v_fma_f64 v[28:29], v[64:65], s[10:11], -v[149:150]
	v_add_f64_e32 v[30:31], v[151:152], v[52:53]
	v_add_f64_e32 v[44:45], v[48:49], v[44:45]
	v_fma_f64 v[48:49], v[64:65], s[22:23], -v[175:176]
	v_fma_f64 v[88:89], v[56:57], s[40:41], v[93:94]
	v_add_f64_e32 v[46:47], v[80:81], v[46:47]
	v_fma_f64 v[80:81], v[56:57], s[14:15], v[189:190]
	v_add_f64_e32 v[84:85], v[84:85], v[90:91]
	;; [unrolled: 2-line block ×5, first 2 shown]
	v_fma_f64 v[99:100], v[64:65], s[30:31], -v[111:112]
	v_fma_f64 v[107:108], v[56:57], s[18:19], v[115:116]
	v_fma_f64 v[78:79], v[56:57], s[38:39], v[189:190]
	;; [unrolled: 1-line block ×4, first 2 shown]
	v_add_f64_e32 v[103:104], v[125:126], v[121:122]
	v_add_f64_e32 v[109:110], v[129:130], v[119:120]
	;; [unrolled: 1-line block ×3, first 2 shown]
	v_fma_f64 v[82:83], v[64:65], s[24:25], v[74:75]
	v_fma_f64 v[74:75], v[64:65], s[24:25], -v[74:75]
	v_add_f64_e32 v[97:98], v[113:114], v[97:98]
	v_fma_f64 v[113:114], v[64:65], s[26:27], v[66:67]
	v_fma_f64 v[64:65], v[64:65], s[26:27], -v[66:67]
	v_add_f64_e32 v[66:67], v[68:69], v[50:51]
	v_fma_f64 v[68:69], v[56:57], s[4:5], v[105:106]
	v_add_f64_e32 v[115:116], v[6:7], v[10:11]
	v_add_f64_e32 v[70:71], v[70:71], v[14:15]
	;; [unrolled: 1-line block ×3, first 2 shown]
	v_fma_f64 v[56:57], v[56:57], s[34:35], v[105:106]
	v_add_f64_e32 v[101:102], v[123:124], v[101:102]
	v_add_f64_e32 v[119:120], v[131:132], v[12:13]
	;; [unrolled: 1-line block ×13, first 2 shown]
	v_and_b32_e32 v60, 0xffff, v172
	v_add_f64_e32 v[36:37], v[86:87], v[93:94]
	v_add_f64_e32 v[28:29], v[78:79], v[44:45]
	;; [unrolled: 1-line block ×3, first 2 shown]
	s_delay_alu instid0(VALU_DEP_4)
	v_lshl_add_u32 v60, v60, 4, v171
	v_add_f64_e32 v[42:43], v[99:100], v[103:104]
	v_add_f64_e32 v[40:41], v[107:108], v[109:110]
	;; [unrolled: 1-line block ×13, first 2 shown]
	ds_store_b128 v60, v[40:43] offset:32
	ds_store_b128 v60, v[36:39] offset:48
	ds_store_b128 v60, v[32:35] offset:64
	ds_store_b128 v60, v[16:19] offset:80
	ds_store_b128 v60, v[8:11] offset:96
	ds_store_b128 v60, v[4:7] offset:112
	ds_store_b128 v60, v[12:15] offset:128
	ds_store_b128 v60, v[28:31] offset:144
	ds_store_b128 v60, v[52:55] offset:16
	ds_store_b128 v60, v[0:3]
	ds_store_b128 v60, v[44:47] offset:160
	ds_store_b128 v60, v[48:51] offset:176
	;; [unrolled: 1-line block ×3, first 2 shown]
.LBB0_13:
	s_or_b32 exec_lo, exec_lo, s33
	global_wb scope:SCOPE_SE
	s_wait_dscnt 0x0
	s_barrier_signal -1
	s_barrier_wait -1
	global_inv scope:SCOPE_SE
	ds_load_b128 v[0:3], v73 offset:208
	ds_load_b128 v[4:7], v73 offset:416
	s_mov_b32 s4, 0xe8584caa
	s_mov_b32 s5, 0xbfebb67a
	;; [unrolled: 1-line block ×3, first 2 shown]
	s_wait_alu 0xfffe
	s_mov_b32 s6, s4
	s_wait_dscnt 0x1
	v_mul_f64_e32 v[8:9], v[26:27], v[2:3]
	s_wait_dscnt 0x0
	v_mul_f64_e32 v[10:11], v[22:23], v[6:7]
	v_mul_f64_e32 v[12:13], v[26:27], v[0:1]
	;; [unrolled: 1-line block ×3, first 2 shown]
	s_delay_alu instid0(VALU_DEP_4) | instskip(NEXT) | instid1(VALU_DEP_4)
	v_fma_f64 v[8:9], v[24:25], v[0:1], v[8:9]
	v_fma_f64 v[4:5], v[20:21], v[4:5], v[10:11]
	s_delay_alu instid0(VALU_DEP_4) | instskip(NEXT) | instid1(VALU_DEP_4)
	v_fma_f64 v[10:11], v[24:25], v[2:3], -v[12:13]
	v_fma_f64 v[6:7], v[20:21], v[6:7], -v[14:15]
	ds_load_b128 v[0:3], v73
	s_wait_dscnt 0x0
	v_add_f64_e32 v[16:17], v[0:1], v[8:9]
	v_add_f64_e32 v[12:13], v[8:9], v[4:5]
	v_add_f64_e64 v[20:21], v[8:9], -v[4:5]
	v_add_f64_e32 v[14:15], v[10:11], v[6:7]
	v_add_f64_e64 v[18:19], v[10:11], -v[6:7]
	v_add_f64_e32 v[10:11], v[2:3], v[10:11]
	v_fma_f64 v[12:13], v[12:13], -0.5, v[0:1]
	v_add_f64_e32 v[0:1], v[16:17], v[4:5]
	v_fma_f64 v[14:15], v[14:15], -0.5, v[2:3]
	s_delay_alu instid0(VALU_DEP_4) | instskip(NEXT) | instid1(VALU_DEP_4)
	v_add_f64_e32 v[2:3], v[10:11], v[6:7]
	v_fma_f64 v[4:5], v[18:19], s[4:5], v[12:13]
	s_wait_alu 0xfffe
	v_fma_f64 v[8:9], v[18:19], s[6:7], v[12:13]
	s_delay_alu instid0(VALU_DEP_4)
	v_fma_f64 v[6:7], v[20:21], s[6:7], v[14:15]
	v_fma_f64 v[10:11], v[20:21], s[4:5], v[14:15]
	ds_store_b128 v72, v[0:3]
	ds_store_b128 v72, v[4:7] offset:208
	ds_store_b128 v72, v[8:11] offset:416
	global_wb scope:SCOPE_SE
	s_wait_dscnt 0x0
	s_barrier_signal -1
	s_barrier_wait -1
	global_inv scope:SCOPE_SE
	s_and_b32 exec_lo, exec_lo, vcc_lo
	s_cbranch_execz .LBB0_15
; %bb.14:
	s_clause 0xc
	global_load_b128 v[0:3], v170, s[12:13]
	global_load_b128 v[4:7], v170, s[12:13] offset:48
	global_load_b128 v[8:11], v170, s[12:13] offset:96
	;; [unrolled: 1-line block ×12, first 2 shown]
	v_mad_co_u64_u32 v[100:101], null, s2, v92, 0
	v_mad_co_u64_u32 v[104:105], null, s0, v168, 0
	v_lshl_add_u32 v114, v169, 4, v170
	ds_load_b128 v[52:55], v72
	ds_load_b128 v[56:59], v114 offset:48
	v_mov_b32_e32 v60, v101
	v_mov_b32_e32 v76, v105
	v_mad_co_u64_u32 v[106:107], null, s0, v167, 0
	v_mad_co_u64_u32 v[108:109], null, s0, v166, 0
	s_delay_alu instid0(VALU_DEP_4) | instskip(NEXT) | instid1(VALU_DEP_4)
	v_mad_co_u64_u32 v[84:85], null, s3, v92, v[60:61]
	v_mad_co_u64_u32 v[102:103], null, s1, v168, v[76:77]
	ds_load_b128 v[60:63], v114 offset:96
	ds_load_b128 v[64:67], v114 offset:144
	;; [unrolled: 1-line block ×6, first 2 shown]
	s_mul_u64 s[4:5], s[0:1], 48
	v_mad_co_u64_u32 v[110:111], null, s0, v165, 0
	v_mov_b32_e32 v101, v84
	v_mov_b32_e32 v105, v102
	ds_load_b128 v[84:87], v114 offset:384
	ds_load_b128 v[88:91], v114 offset:432
	;; [unrolled: 1-line block ×4, first 2 shown]
	s_mov_b32 s6, 0x1a41a41a
	s_mov_b32 s7, 0x3f9a41a4
	v_lshlrev_b64_e32 v[112:113], 4, v[100:101]
	ds_load_b128 v[100:103], v114 offset:576
	v_lshlrev_b64_e32 v[104:105], 4, v[104:105]
	v_mad_co_u64_u32 v[143:144], null, s1, v166, v[109:110]
	s_mul_i32 s2, s1, 0x60
	v_add_co_u32 v149, vcc_lo, s8, v112
	v_add_co_ci_u32_e32 v150, vcc_lo, s9, v113, vcc_lo
	v_mad_co_u64_u32 v[112:113], null, s1, v167, v[107:108]
	s_delay_alu instid0(VALU_DEP_3) | instskip(SKIP_1) | instid1(VALU_DEP_3)
	v_add_co_u32 v104, vcc_lo, v149, v104
	s_wait_alu 0xfffd
	v_add_co_ci_u32_e32 v105, vcc_lo, v150, v105, vcc_lo
	v_mov_b32_e32 v109, v143
	s_wait_alu 0xfffe
	v_add_co_u32 v113, vcc_lo, v104, s4
	s_wait_alu 0xfffd
	v_add_co_ci_u32_e32 v114, vcc_lo, s5, v105, vcc_lo
	v_mad_co_u64_u32 v[146:147], null, s1, v165, v[111:112]
	s_delay_alu instid0(VALU_DEP_3) | instskip(SKIP_1) | instid1(VALU_DEP_3)
	v_add_co_u32 v141, vcc_lo, v113, s4
	s_wait_alu 0xfffd
	v_add_co_ci_u32_e32 v142, vcc_lo, s5, v114, vcc_lo
	s_delay_alu instid0(VALU_DEP_2) | instskip(SKIP_1) | instid1(VALU_DEP_2)
	v_add_co_u32 v144, vcc_lo, v141, s4
	s_wait_alu 0xfffd
	v_add_co_ci_u32_e32 v145, vcc_lo, s5, v142, vcc_lo
	v_mov_b32_e32 v111, v146
	s_delay_alu instid0(VALU_DEP_2) | instskip(NEXT) | instid1(VALU_DEP_1)
	v_mad_co_u64_u32 v[147:148], null, 0x60, s0, v[144:145]
	v_dual_mov_b32 v107, v112 :: v_dual_add_nc_u32 v148, s2, v148
	s_wait_loadcnt_dscnt 0xc0c
	v_mul_f64_e32 v[115:116], v[54:55], v[2:3]
	v_mul_f64_e32 v[2:3], v[52:53], v[2:3]
	s_wait_loadcnt_dscnt 0xb0b
	v_mul_f64_e32 v[117:118], v[58:59], v[6:7]
	v_mul_f64_e32 v[6:7], v[56:57], v[6:7]
	;; [unrolled: 3-line block ×13, first 2 shown]
	v_fma_f64 v[52:53], v[52:53], v[0:1], v[115:116]
	v_fma_f64 v[2:3], v[0:1], v[54:55], -v[2:3]
	v_fma_f64 v[54:55], v[56:57], v[4:5], v[117:118]
	v_fma_f64 v[6:7], v[4:5], v[58:59], -v[6:7]
	;; [unrolled: 2-line block ×13, first 2 shown]
	v_add_co_u32 v78, vcc_lo, v147, s4
	s_wait_alu 0xfffd
	v_add_co_ci_u32_e32 v79, vcc_lo, s5, v148, vcc_lo
	v_lshlrev_b64_e32 v[80:81], 4, v[106:107]
	s_delay_alu instid0(VALU_DEP_3) | instskip(SKIP_1) | instid1(VALU_DEP_3)
	v_add_co_u32 v82, vcc_lo, v78, s4
	s_wait_alu 0xfffd
	v_add_co_ci_u32_e32 v83, vcc_lo, s5, v79, vcc_lo
	v_mul_f64_e32 v[0:1], s[6:7], v[52:53]
	v_mul_f64_e32 v[2:3], s[6:7], v[2:3]
	;; [unrolled: 1-line block ×26, first 2 shown]
	v_mad_co_u64_u32 v[52:53], null, 0x60, s0, v[82:83]
	v_lshlrev_b64_e32 v[54:55], 4, v[108:109]
	v_add_co_u32 v58, vcc_lo, v149, v80
	s_wait_alu 0xfffd
	v_add_co_ci_u32_e32 v59, vcc_lo, v150, v81, vcc_lo
	v_lshlrev_b64_e32 v[56:57], 4, v[110:111]
	v_add_nc_u32_e32 v53, s2, v53
	v_add_co_u32 v54, vcc_lo, v149, v54
	s_wait_alu 0xfffd
	v_add_co_ci_u32_e32 v55, vcc_lo, v150, v55, vcc_lo
	v_add_co_u32 v60, vcc_lo, v52, s4
	s_wait_alu 0xfffd
	v_add_co_ci_u32_e32 v61, vcc_lo, s5, v53, vcc_lo
	;; [unrolled: 3-line block ×4, first 2 shown]
	s_clause 0x5
	global_store_b128 v[104:105], v[0:3], off
	global_store_b128 v[113:114], v[4:7], off
	;; [unrolled: 1-line block ×13, first 2 shown]
.LBB0_15:
	s_nop 0
	s_sendmsg sendmsg(MSG_DEALLOC_VGPRS)
	s_endpgm
	.section	.rodata,"a",@progbits
	.p2align	6, 0x0
	.amdhsa_kernel bluestein_single_back_len39_dim1_dp_op_CI_CI
		.amdhsa_group_segment_fixed_size 11856
		.amdhsa_private_segment_fixed_size 0
		.amdhsa_kernarg_size 104
		.amdhsa_user_sgpr_count 2
		.amdhsa_user_sgpr_dispatch_ptr 0
		.amdhsa_user_sgpr_queue_ptr 0
		.amdhsa_user_sgpr_kernarg_segment_ptr 1
		.amdhsa_user_sgpr_dispatch_id 0
		.amdhsa_user_sgpr_private_segment_size 0
		.amdhsa_wavefront_size32 1
		.amdhsa_uses_dynamic_stack 0
		.amdhsa_enable_private_segment 0
		.amdhsa_system_sgpr_workgroup_id_x 1
		.amdhsa_system_sgpr_workgroup_id_y 0
		.amdhsa_system_sgpr_workgroup_id_z 0
		.amdhsa_system_sgpr_workgroup_info 0
		.amdhsa_system_vgpr_workitem_id 0
		.amdhsa_next_free_vgpr 242
		.amdhsa_next_free_sgpr 46
		.amdhsa_reserve_vcc 1
		.amdhsa_float_round_mode_32 0
		.amdhsa_float_round_mode_16_64 0
		.amdhsa_float_denorm_mode_32 3
		.amdhsa_float_denorm_mode_16_64 3
		.amdhsa_fp16_overflow 0
		.amdhsa_workgroup_processor_mode 1
		.amdhsa_memory_ordered 1
		.amdhsa_forward_progress 0
		.amdhsa_round_robin_scheduling 0
		.amdhsa_exception_fp_ieee_invalid_op 0
		.amdhsa_exception_fp_denorm_src 0
		.amdhsa_exception_fp_ieee_div_zero 0
		.amdhsa_exception_fp_ieee_overflow 0
		.amdhsa_exception_fp_ieee_underflow 0
		.amdhsa_exception_fp_ieee_inexact 0
		.amdhsa_exception_int_div_zero 0
	.end_amdhsa_kernel
	.text
.Lfunc_end0:
	.size	bluestein_single_back_len39_dim1_dp_op_CI_CI, .Lfunc_end0-bluestein_single_back_len39_dim1_dp_op_CI_CI
                                        ; -- End function
	.section	.AMDGPU.csdata,"",@progbits
; Kernel info:
; codeLenInByte = 10068
; NumSgprs: 48
; NumVgprs: 242
; ScratchSize: 0
; MemoryBound: 0
; FloatMode: 240
; IeeeMode: 1
; LDSByteSize: 11856 bytes/workgroup (compile time only)
; SGPRBlocks: 5
; VGPRBlocks: 30
; NumSGPRsForWavesPerEU: 48
; NumVGPRsForWavesPerEU: 242
; Occupancy: 5
; WaveLimiterHint : 1
; COMPUTE_PGM_RSRC2:SCRATCH_EN: 0
; COMPUTE_PGM_RSRC2:USER_SGPR: 2
; COMPUTE_PGM_RSRC2:TRAP_HANDLER: 0
; COMPUTE_PGM_RSRC2:TGID_X_EN: 1
; COMPUTE_PGM_RSRC2:TGID_Y_EN: 0
; COMPUTE_PGM_RSRC2:TGID_Z_EN: 0
; COMPUTE_PGM_RSRC2:TIDIG_COMP_CNT: 0
	.text
	.p2alignl 7, 3214868480
	.fill 96, 4, 3214868480
	.type	__hip_cuid_b907d04761fc0d3e,@object ; @__hip_cuid_b907d04761fc0d3e
	.section	.bss,"aw",@nobits
	.globl	__hip_cuid_b907d04761fc0d3e
__hip_cuid_b907d04761fc0d3e:
	.byte	0                               ; 0x0
	.size	__hip_cuid_b907d04761fc0d3e, 1

	.ident	"AMD clang version 19.0.0git (https://github.com/RadeonOpenCompute/llvm-project roc-6.4.0 25133 c7fe45cf4b819c5991fe208aaa96edf142730f1d)"
	.section	".note.GNU-stack","",@progbits
	.addrsig
	.addrsig_sym __hip_cuid_b907d04761fc0d3e
	.amdgpu_metadata
---
amdhsa.kernels:
  - .args:
      - .actual_access:  read_only
        .address_space:  global
        .offset:         0
        .size:           8
        .value_kind:     global_buffer
      - .actual_access:  read_only
        .address_space:  global
        .offset:         8
        .size:           8
        .value_kind:     global_buffer
      - .actual_access:  read_only
        .address_space:  global
        .offset:         16
        .size:           8
        .value_kind:     global_buffer
      - .actual_access:  read_only
        .address_space:  global
        .offset:         24
        .size:           8
        .value_kind:     global_buffer
      - .actual_access:  read_only
        .address_space:  global
        .offset:         32
        .size:           8
        .value_kind:     global_buffer
      - .offset:         40
        .size:           8
        .value_kind:     by_value
      - .address_space:  global
        .offset:         48
        .size:           8
        .value_kind:     global_buffer
      - .address_space:  global
        .offset:         56
        .size:           8
        .value_kind:     global_buffer
      - .address_space:  global
        .offset:         64
        .size:           8
        .value_kind:     global_buffer
      - .address_space:  global
        .offset:         72
        .size:           8
        .value_kind:     global_buffer
      - .offset:         80
        .size:           4
        .value_kind:     by_value
      - .address_space:  global
        .offset:         88
        .size:           8
        .value_kind:     global_buffer
      - .address_space:  global
        .offset:         96
        .size:           8
        .value_kind:     global_buffer
    .group_segment_fixed_size: 11856
    .kernarg_segment_align: 8
    .kernarg_segment_size: 104
    .language:       OpenCL C
    .language_version:
      - 2
      - 0
    .max_flat_workgroup_size: 247
    .name:           bluestein_single_back_len39_dim1_dp_op_CI_CI
    .private_segment_fixed_size: 0
    .sgpr_count:     48
    .sgpr_spill_count: 0
    .symbol:         bluestein_single_back_len39_dim1_dp_op_CI_CI.kd
    .uniform_work_group_size: 1
    .uses_dynamic_stack: false
    .vgpr_count:     242
    .vgpr_spill_count: 0
    .wavefront_size: 32
    .workgroup_processor_mode: 1
amdhsa.target:   amdgcn-amd-amdhsa--gfx1201
amdhsa.version:
  - 1
  - 2
...

	.end_amdgpu_metadata
